;; amdgpu-corpus repo=ROCm/rocFFT kind=compiled arch=gfx906 opt=O3
	.text
	.amdgcn_target "amdgcn-amd-amdhsa--gfx906"
	.amdhsa_code_object_version 6
	.protected	fft_rtc_back_len1936_factors_2_2_4_11_11_wgs_176_tpt_176_sp_op_CI_CI_sbrr_dirReg ; -- Begin function fft_rtc_back_len1936_factors_2_2_4_11_11_wgs_176_tpt_176_sp_op_CI_CI_sbrr_dirReg
	.globl	fft_rtc_back_len1936_factors_2_2_4_11_11_wgs_176_tpt_176_sp_op_CI_CI_sbrr_dirReg
	.p2align	8
	.type	fft_rtc_back_len1936_factors_2_2_4_11_11_wgs_176_tpt_176_sp_op_CI_CI_sbrr_dirReg,@function
fft_rtc_back_len1936_factors_2_2_4_11_11_wgs_176_tpt_176_sp_op_CI_CI_sbrr_dirReg: ; @fft_rtc_back_len1936_factors_2_2_4_11_11_wgs_176_tpt_176_sp_op_CI_CI_sbrr_dirReg
; %bb.0:
	s_load_dwordx4 s[16:19], s[4:5], 0x18
	s_load_dwordx4 s[12:15], s[4:5], 0x0
	;; [unrolled: 1-line block ×3, first 2 shown]
	v_mul_u32_u24_e32 v1, 0x175, v0
	v_add_u32_sdwa v5, s6, v1 dst_sel:DWORD dst_unused:UNUSED_PAD src0_sel:DWORD src1_sel:WORD_1
	s_waitcnt lgkmcnt(0)
	s_load_dwordx2 s[20:21], s[16:17], 0x0
	s_load_dwordx2 s[2:3], s[18:19], 0x0
	v_cmp_lt_u64_e64 s[0:1], s[14:15], 2
	v_mov_b32_e32 v3, 0
	v_mov_b32_e32 v1, 0
	;; [unrolled: 1-line block ×3, first 2 shown]
	s_and_b64 vcc, exec, s[0:1]
	v_mov_b32_e32 v2, 0
	s_cbranch_vccnz .LBB0_8
; %bb.1:
	s_load_dwordx2 s[0:1], s[4:5], 0x10
	s_add_u32 s6, s18, 8
	s_addc_u32 s7, s19, 0
	s_add_u32 s22, s16, 8
	v_mov_b32_e32 v1, 0
	s_addc_u32 s23, s17, 0
	v_mov_b32_e32 v2, 0
	s_waitcnt lgkmcnt(0)
	s_add_u32 s24, s0, 8
	v_mov_b32_e32 v17, v2
	s_addc_u32 s25, s1, 0
	s_mov_b64 s[26:27], 1
	v_mov_b32_e32 v16, v1
.LBB0_2:                                ; =>This Inner Loop Header: Depth=1
	s_load_dwordx2 s[28:29], s[24:25], 0x0
                                        ; implicit-def: $vgpr18_vgpr19
	s_waitcnt lgkmcnt(0)
	v_or_b32_e32 v4, s29, v6
	v_cmp_ne_u64_e32 vcc, 0, v[3:4]
	s_and_saveexec_b64 s[0:1], vcc
	s_xor_b64 s[30:31], exec, s[0:1]
	s_cbranch_execz .LBB0_4
; %bb.3:                                ;   in Loop: Header=BB0_2 Depth=1
	v_cvt_f32_u32_e32 v4, s28
	v_cvt_f32_u32_e32 v7, s29
	s_sub_u32 s0, 0, s28
	s_subb_u32 s1, 0, s29
	v_mac_f32_e32 v4, 0x4f800000, v7
	v_rcp_f32_e32 v4, v4
	v_mul_f32_e32 v4, 0x5f7ffffc, v4
	v_mul_f32_e32 v7, 0x2f800000, v4
	v_trunc_f32_e32 v7, v7
	v_mac_f32_e32 v4, 0xcf800000, v7
	v_cvt_u32_f32_e32 v7, v7
	v_cvt_u32_f32_e32 v4, v4
	v_mul_lo_u32 v8, s0, v7
	v_mul_hi_u32 v9, s0, v4
	v_mul_lo_u32 v11, s1, v4
	v_mul_lo_u32 v10, s0, v4
	v_add_u32_e32 v8, v9, v8
	v_add_u32_e32 v8, v8, v11
	v_mul_hi_u32 v9, v4, v10
	v_mul_lo_u32 v11, v4, v8
	v_mul_hi_u32 v13, v4, v8
	v_mul_hi_u32 v12, v7, v10
	v_mul_lo_u32 v10, v7, v10
	v_mul_hi_u32 v14, v7, v8
	v_add_co_u32_e32 v9, vcc, v9, v11
	v_addc_co_u32_e32 v11, vcc, 0, v13, vcc
	v_mul_lo_u32 v8, v7, v8
	v_add_co_u32_e32 v9, vcc, v9, v10
	v_addc_co_u32_e32 v9, vcc, v11, v12, vcc
	v_addc_co_u32_e32 v10, vcc, 0, v14, vcc
	v_add_co_u32_e32 v8, vcc, v9, v8
	v_addc_co_u32_e32 v9, vcc, 0, v10, vcc
	v_add_co_u32_e32 v4, vcc, v4, v8
	v_addc_co_u32_e32 v7, vcc, v7, v9, vcc
	v_mul_lo_u32 v8, s0, v7
	v_mul_hi_u32 v9, s0, v4
	v_mul_lo_u32 v10, s1, v4
	v_mul_lo_u32 v11, s0, v4
	v_add_u32_e32 v8, v9, v8
	v_add_u32_e32 v8, v8, v10
	v_mul_lo_u32 v12, v4, v8
	v_mul_hi_u32 v13, v4, v11
	v_mul_hi_u32 v14, v4, v8
	;; [unrolled: 1-line block ×3, first 2 shown]
	v_mul_lo_u32 v11, v7, v11
	v_mul_hi_u32 v9, v7, v8
	v_add_co_u32_e32 v12, vcc, v13, v12
	v_addc_co_u32_e32 v13, vcc, 0, v14, vcc
	v_mul_lo_u32 v8, v7, v8
	v_add_co_u32_e32 v11, vcc, v12, v11
	v_addc_co_u32_e32 v10, vcc, v13, v10, vcc
	v_addc_co_u32_e32 v9, vcc, 0, v9, vcc
	v_add_co_u32_e32 v8, vcc, v10, v8
	v_addc_co_u32_e32 v9, vcc, 0, v9, vcc
	v_add_co_u32_e32 v4, vcc, v4, v8
	v_addc_co_u32_e32 v9, vcc, v7, v9, vcc
	v_mad_u64_u32 v[7:8], s[0:1], v5, v9, 0
	v_mul_hi_u32 v10, v5, v4
	v_add_co_u32_e32 v11, vcc, v10, v7
	v_addc_co_u32_e32 v12, vcc, 0, v8, vcc
	v_mad_u64_u32 v[7:8], s[0:1], v6, v4, 0
	v_mad_u64_u32 v[9:10], s[0:1], v6, v9, 0
	v_add_co_u32_e32 v4, vcc, v11, v7
	v_addc_co_u32_e32 v4, vcc, v12, v8, vcc
	v_addc_co_u32_e32 v7, vcc, 0, v10, vcc
	v_add_co_u32_e32 v4, vcc, v4, v9
	v_addc_co_u32_e32 v9, vcc, 0, v7, vcc
	v_mul_lo_u32 v10, s29, v4
	v_mul_lo_u32 v11, s28, v9
	v_mad_u64_u32 v[7:8], s[0:1], s28, v4, 0
	v_add3_u32 v8, v8, v11, v10
	v_sub_u32_e32 v10, v6, v8
	v_mov_b32_e32 v11, s29
	v_sub_co_u32_e32 v7, vcc, v5, v7
	v_subb_co_u32_e64 v10, s[0:1], v10, v11, vcc
	v_subrev_co_u32_e64 v11, s[0:1], s28, v7
	v_subbrev_co_u32_e64 v10, s[0:1], 0, v10, s[0:1]
	v_cmp_le_u32_e64 s[0:1], s29, v10
	v_cndmask_b32_e64 v12, 0, -1, s[0:1]
	v_cmp_le_u32_e64 s[0:1], s28, v11
	v_cndmask_b32_e64 v11, 0, -1, s[0:1]
	v_cmp_eq_u32_e64 s[0:1], s29, v10
	v_cndmask_b32_e64 v10, v12, v11, s[0:1]
	v_add_co_u32_e64 v11, s[0:1], 2, v4
	v_addc_co_u32_e64 v12, s[0:1], 0, v9, s[0:1]
	v_add_co_u32_e64 v13, s[0:1], 1, v4
	v_addc_co_u32_e64 v14, s[0:1], 0, v9, s[0:1]
	v_subb_co_u32_e32 v8, vcc, v6, v8, vcc
	v_cmp_ne_u32_e64 s[0:1], 0, v10
	v_cmp_le_u32_e32 vcc, s29, v8
	v_cndmask_b32_e64 v10, v14, v12, s[0:1]
	v_cndmask_b32_e64 v12, 0, -1, vcc
	v_cmp_le_u32_e32 vcc, s28, v7
	v_cndmask_b32_e64 v7, 0, -1, vcc
	v_cmp_eq_u32_e32 vcc, s29, v8
	v_cndmask_b32_e32 v7, v12, v7, vcc
	v_cmp_ne_u32_e32 vcc, 0, v7
	v_cndmask_b32_e64 v7, v13, v11, s[0:1]
	v_cndmask_b32_e32 v19, v9, v10, vcc
	v_cndmask_b32_e32 v18, v4, v7, vcc
.LBB0_4:                                ;   in Loop: Header=BB0_2 Depth=1
	s_andn2_saveexec_b64 s[0:1], s[30:31]
	s_cbranch_execz .LBB0_6
; %bb.5:                                ;   in Loop: Header=BB0_2 Depth=1
	v_cvt_f32_u32_e32 v4, s28
	s_sub_i32 s30, 0, s28
	v_mov_b32_e32 v19, v3
	v_rcp_iflag_f32_e32 v4, v4
	v_mul_f32_e32 v4, 0x4f7ffffe, v4
	v_cvt_u32_f32_e32 v4, v4
	v_mul_lo_u32 v7, s30, v4
	v_mul_hi_u32 v7, v4, v7
	v_add_u32_e32 v4, v4, v7
	v_mul_hi_u32 v4, v5, v4
	v_mul_lo_u32 v7, v4, s28
	v_add_u32_e32 v8, 1, v4
	v_sub_u32_e32 v7, v5, v7
	v_subrev_u32_e32 v9, s28, v7
	v_cmp_le_u32_e32 vcc, s28, v7
	v_cndmask_b32_e32 v7, v7, v9, vcc
	v_cndmask_b32_e32 v4, v4, v8, vcc
	v_add_u32_e32 v8, 1, v4
	v_cmp_le_u32_e32 vcc, s28, v7
	v_cndmask_b32_e32 v18, v4, v8, vcc
.LBB0_6:                                ;   in Loop: Header=BB0_2 Depth=1
	s_or_b64 exec, exec, s[0:1]
	v_mul_lo_u32 v4, v19, s28
	v_mul_lo_u32 v9, v18, s29
	v_mad_u64_u32 v[7:8], s[0:1], v18, s28, 0
	s_load_dwordx2 s[0:1], s[22:23], 0x0
	s_load_dwordx2 s[28:29], s[6:7], 0x0
	v_add3_u32 v4, v8, v9, v4
	v_sub_co_u32_e32 v5, vcc, v5, v7
	v_subb_co_u32_e32 v4, vcc, v6, v4, vcc
	s_waitcnt lgkmcnt(0)
	v_mul_lo_u32 v6, s0, v4
	v_mul_lo_u32 v7, s1, v5
	v_mad_u64_u32 v[1:2], s[0:1], s0, v5, v[1:2]
	v_mul_lo_u32 v4, s28, v4
	v_mul_lo_u32 v8, s29, v5
	v_mad_u64_u32 v[16:17], s[0:1], s28, v5, v[16:17]
	s_add_u32 s26, s26, 1
	s_addc_u32 s27, s27, 0
	s_add_u32 s6, s6, 8
	v_add3_u32 v17, v8, v17, v4
	s_addc_u32 s7, s7, 0
	v_mov_b32_e32 v4, s14
	s_add_u32 s22, s22, 8
	v_mov_b32_e32 v5, s15
	s_addc_u32 s23, s23, 0
	v_cmp_ge_u64_e32 vcc, s[26:27], v[4:5]
	s_add_u32 s24, s24, 8
	v_add3_u32 v2, v7, v2, v6
	s_addc_u32 s25, s25, 0
	s_cbranch_vccnz .LBB0_9
; %bb.7:                                ;   in Loop: Header=BB0_2 Depth=1
	v_mov_b32_e32 v5, v18
	v_mov_b32_e32 v6, v19
	s_branch .LBB0_2
.LBB0_8:
	v_mov_b32_e32 v17, v2
	v_mov_b32_e32 v19, v6
	;; [unrolled: 1-line block ×4, first 2 shown]
.LBB0_9:
	s_load_dwordx2 s[0:1], s[4:5], 0x28
	s_lshl_b64 s[14:15], s[14:15], 3
	s_add_u32 s4, s18, s14
	s_addc_u32 s5, s19, s15
                                        ; implicit-def: $sgpr18
                                        ; implicit-def: $sgpr19
                                        ; implicit-def: $vgpr35
                                        ; implicit-def: $vgpr40
                                        ; implicit-def: $vgpr37
                                        ; implicit-def: $vgpr30
                                        ; implicit-def: $vgpr31
	s_waitcnt lgkmcnt(0)
	v_cmp_gt_u64_e32 vcc, s[0:1], v[18:19]
	v_cmp_le_u64_e64 s[0:1], s[0:1], v[18:19]
	s_and_saveexec_b64 s[6:7], s[0:1]
	s_xor_b64 s[0:1], exec, s[6:7]
; %bb.10:
	s_mov_b32 s6, 0x1745d18
	v_mul_hi_u32 v1, v0, s6
	s_mov_b32 s19, 0
	s_mov_b32 s18, 0
	v_mul_u32_u24_e32 v1, 0xb0, v1
	v_sub_u32_e32 v35, v0, v1
	v_add_u32_e32 v40, 0xb0, v35
	v_add_u32_e32 v37, 0x160, v35
	v_add_u32_e32 v30, 0x210, v35
	v_add_u32_e32 v31, 0x2c0, v35
                                        ; implicit-def: $vgpr0
                                        ; implicit-def: $vgpr1_vgpr2
; %bb.11:
	s_or_saveexec_b64 s[6:7], s[0:1]
	s_load_dwordx2 s[4:5], s[4:5], 0x0
	v_mov_b32_e32 v27, s19
	v_mov_b32_e32 v34, s18
	;; [unrolled: 1-line block ×3, first 2 shown]
                                        ; implicit-def: $vgpr3
                                        ; implicit-def: $vgpr9
                                        ; implicit-def: $vgpr5
                                        ; implicit-def: $vgpr15
                                        ; implicit-def: $vgpr7
                                        ; implicit-def: $vgpr21
                                        ; implicit-def: $vgpr11
                                        ; implicit-def: $vgpr13
                                        ; implicit-def: $vgpr23
                                        ; implicit-def: $vgpr29
                                        ; implicit-def: $vgpr25
	s_xor_b64 exec, exec, s[6:7]
	s_cbranch_execz .LBB0_15
; %bb.12:
	s_add_u32 s0, s16, s14
	s_mov_b32 s14, 0x1745d18
	v_mul_hi_u32 v3, v0, s14
	s_addc_u32 s1, s17, s15
	s_load_dwordx2 s[0:1], s[0:1], 0x0
	v_mul_u32_u24_e32 v3, 0xb0, v3
	v_sub_u32_e32 v35, v0, v3
	v_mad_u64_u32 v[3:4], s[14:15], s20, v35, 0
	s_waitcnt lgkmcnt(0)
	v_mul_lo_u32 v9, s1, v18
	v_mul_lo_u32 v10, s0, v19
	v_mad_u64_u32 v[5:6], s[0:1], s0, v18, 0
	v_mov_b32_e32 v0, v4
	v_mad_u64_u32 v[7:8], s[0:1], s21, v35, v[0:1]
	v_add3_u32 v6, v6, v10, v9
	v_lshlrev_b64 v[5:6], 3, v[5:6]
	v_mov_b32_e32 v4, v7
	v_mov_b32_e32 v0, s9
	v_add_co_u32_e64 v7, s[0:1], s8, v5
	v_add_u32_e32 v9, 0x3c8, v35
	v_addc_co_u32_e64 v8, s[0:1], v0, v6, s[0:1]
	v_mad_u64_u32 v[5:6], s[0:1], s20, v9, 0
	v_lshlrev_b64 v[0:1], 3, v[1:2]
	v_lshlrev_b64 v[2:3], 3, v[3:4]
	v_add_co_u32_e64 v0, s[0:1], v7, v0
	v_mov_b32_e32 v4, v6
	v_addc_co_u32_e64 v1, s[0:1], v8, v1, s[0:1]
	v_mad_u64_u32 v[6:7], s[0:1], s21, v9, v[4:5]
	v_add_u32_e32 v40, 0xb0, v35
	v_mad_u64_u32 v[7:8], s[0:1], s20, v40, 0
	v_add_co_u32_e64 v26, s[0:1], v0, v2
	v_mov_b32_e32 v4, v8
	v_addc_co_u32_e64 v27, s[0:1], v1, v3, s[0:1]
	v_lshlrev_b64 v[2:3], 3, v[5:6]
	v_mad_u64_u32 v[4:5], s[0:1], s21, v40, v[4:5]
	v_add_u32_e32 v9, 0x478, v35
	v_mad_u64_u32 v[5:6], s[0:1], s20, v9, 0
	v_add_co_u32_e64 v28, s[0:1], v0, v2
	v_mov_b32_e32 v8, v4
	v_mov_b32_e32 v4, v6
	v_addc_co_u32_e64 v29, s[0:1], v1, v3, s[0:1]
	v_lshlrev_b64 v[2:3], 3, v[7:8]
	v_mad_u64_u32 v[6:7], s[0:1], s21, v9, v[4:5]
	v_add_u32_e32 v37, 0x160, v35
	v_mad_u64_u32 v[7:8], s[0:1], s20, v37, 0
	v_add_co_u32_e64 v32, s[0:1], v0, v2
	v_mov_b32_e32 v4, v8
	v_addc_co_u32_e64 v33, s[0:1], v1, v3, s[0:1]
	v_lshlrev_b64 v[2:3], 3, v[5:6]
	v_mad_u64_u32 v[4:5], s[0:1], s21, v37, v[4:5]
	v_add_u32_e32 v9, 0x528, v35
	v_mad_u64_u32 v[5:6], s[0:1], s20, v9, 0
	v_add_co_u32_e64 v38, s[0:1], v0, v2
	v_mov_b32_e32 v8, v4
	v_mov_b32_e32 v4, v6
	v_addc_co_u32_e64 v39, s[0:1], v1, v3, s[0:1]
	v_lshlrev_b64 v[2:3], 3, v[7:8]
	;; [unrolled: 15-line block ×4, first 2 shown]
	v_mad_u64_u32 v[6:7], s[0:1], s21, v9, v[4:5]
	v_add_co_u32_e64 v49, s[0:1], v0, v2
	v_addc_co_u32_e64 v50, s[0:1], v1, v3, s[0:1]
	v_lshlrev_b64 v[2:3], 3, v[5:6]
	v_add_co_u32_e64 v51, s[0:1], v0, v2
	v_addc_co_u32_e64 v52, s[0:1], v1, v3, s[0:1]
	global_load_dwordx2 v[2:3], v[26:27], off
	global_load_dwordx2 v[8:9], v[28:29], off
	;; [unrolled: 1-line block ×10, first 2 shown]
	s_movk_i32 s0, 0x58
	v_cmp_gt_u32_e64 s[0:1], s0, v35
	v_mov_b32_e32 v26, 0
	v_mov_b32_e32 v27, 0
                                        ; implicit-def: $vgpr28
	s_and_saveexec_b64 s[8:9], s[0:1]
	s_cbranch_execz .LBB0_14
; %bb.13:
	v_add_u32_e32 v32, 0x370, v35
	v_add_u32_e32 v34, 0x738, v35
	v_mad_u64_u32 v[26:27], s[0:1], s20, v32, 0
	v_mad_u64_u32 v[28:29], s[0:1], s20, v34, 0
	;; [unrolled: 1-line block ×3, first 2 shown]
	v_mov_b32_e32 v27, v32
	v_mad_u64_u32 v[32:33], s[0:1], s21, v34, v[29:30]
	v_lshlrev_b64 v[26:27], 3, v[26:27]
	v_add_co_u32_e64 v33, s[0:1], v0, v26
	v_mov_b32_e32 v29, v32
	v_addc_co_u32_e64 v34, s[0:1], v1, v27, s[0:1]
	v_lshlrev_b64 v[26:27], 3, v[28:29]
	v_add_co_u32_e64 v0, s[0:1], v0, v26
	v_addc_co_u32_e64 v1, s[0:1], v1, v27, s[0:1]
	global_load_dwordx2 v[26:27], v[33:34], off
	global_load_dwordx2 v[28:29], v[0:1], off
.LBB0_14:
	s_or_b64 exec, exec, s[8:9]
	v_mov_b32_e32 v34, v35
.LBB0_15:
	s_or_b64 exec, exec, s[6:7]
	s_waitcnt vmcnt(8)
	v_sub_f32_e32 v0, v2, v8
	v_sub_f32_e32 v1, v3, v9
	s_waitcnt vmcnt(6)
	v_sub_f32_e32 v14, v4, v14
	v_sub_f32_e32 v15, v5, v15
	;; [unrolled: 3-line block ×4, first 2 shown]
	v_fma_f32 v2, v2, 2.0, -v0
	v_fma_f32 v3, v3, 2.0, -v1
	;; [unrolled: 1-line block ×8, first 2 shown]
	s_waitcnt vmcnt(0)
	v_sub_f32_e32 v22, v12, v22
	v_sub_f32_e32 v23, v13, v23
	;; [unrolled: 1-line block ×4, first 2 shown]
	v_lshl_add_u32 v25, v35, 4, 0
	v_lshl_add_u32 v32, v40, 4, 0
	v_lshl_add_u32 v39, v37, 4, 0
	v_lshl_add_u32 v41, v30, 4, 0
	s_movk_i32 s0, 0x58
	v_fma_f32 v12, v12, 2.0, -v22
	v_fma_f32 v13, v13, 2.0, -v23
	;; [unrolled: 1-line block ×4, first 2 shown]
	ds_write2_b64 v25, v[2:3], v[0:1] offset1:1
	ds_write2_b64 v32, v[4:5], v[14:15] offset1:1
	;; [unrolled: 1-line block ×4, first 2 shown]
	v_lshl_add_u32 v42, v31, 4, 0
	v_add_u32_e32 v33, 0x370, v35
	v_cmp_gt_u32_e64 s[0:1], s0, v35
	ds_write2_b64 v42, v[12:13], v[22:23] offset1:1
	s_and_saveexec_b64 s[6:7], s[0:1]
	s_cbranch_execz .LBB0_17
; %bb.16:
	v_lshl_add_u32 v0, v33, 4, 0
	ds_write2_b64 v0, v[8:9], v[10:11] offset1:1
.LBB0_17:
	s_or_b64 exec, exec, s[6:7]
	v_lshlrev_b32_e32 v0, 3, v35
	v_sub_u32_e32 v22, v25, v0
	v_lshlrev_b32_e32 v48, 3, v40
	v_lshlrev_b32_e32 v49, 3, v37
	;; [unrolled: 1-line block ×4, first 2 shown]
	v_sub_u32_e32 v36, 0, v0
	v_add_u32_e32 v0, 0x1c00, v22
	v_sub_u32_e32 v23, v32, v48
	v_sub_u32_e32 v26, v39, v49
	v_add_u32_e32 v4, 0x2800, v22
	v_sub_u32_e32 v14, v41, v43
	v_sub_u32_e32 v15, v42, v44
	s_waitcnt lgkmcnt(0)
	s_barrier
	ds_read_b64 v[12:13], v22
	ds_read2_b64 v[0:3], v0 offset0:72 offset1:248
	ds_read2_b64 v[4:7], v4 offset0:40 offset1:216
	ds_read_b64 v[20:21], v14
	ds_read_b64 v[14:15], v15
	;; [unrolled: 1-line block ×4, first 2 shown]
	ds_read_b64 v[22:23], v22 offset:13376
	v_lshlrev_b32_e32 v24, 1, v35
	v_add_u32_e32 v36, v25, v36
	v_lshlrev_b32_e32 v46, 1, v40
	v_lshlrev_b32_e32 v45, 1, v30
	;; [unrolled: 1-line block ×4, first 2 shown]
	s_and_saveexec_b64 s[6:7], s[0:1]
	s_cbranch_execz .LBB0_19
; %bb.18:
	ds_read_b64 v[8:9], v36 offset:7040
	ds_read_b64 v[10:11], v36 offset:14784
.LBB0_19:
	s_or_b64 exec, exec, s[6:7]
	v_and_b32_e32 v38, 1, v35
	v_lshlrev_b32_e32 v30, 3, v38
	global_load_dwordx2 v[50:51], v30, s[12:13]
	s_movk_i32 s6, 0x1fc
	s_movk_i32 s7, 0x3fc
	;; [unrolled: 1-line block ×3, first 2 shown]
	v_and_or_b32 v24, v24, s6, v38
	v_and_or_b32 v46, v46, s7, v38
	;; [unrolled: 1-line block ×4, first 2 shown]
	v_sub_u32_e32 v31, 0, v48
	v_sub_u32_e32 v30, 0, v49
	v_lshl_add_u32 v48, v24, 3, 0
	v_lshl_add_u32 v49, v46, 3, 0
	;; [unrolled: 1-line block ×4, first 2 shown]
	v_and_or_b32 v47, v47, s8, v38
	s_waitcnt vmcnt(0) lgkmcnt(0)
	s_barrier
	v_lshl_add_u32 v47, v47, 3, 0
	v_mul_f32_e32 v24, v51, v1
	v_mul_f32_e32 v25, v51, v0
	;; [unrolled: 1-line block ×12, first 2 shown]
	v_fmac_f32_e32 v24, v50, v0
	v_fma_f32 v1, v50, v1, -v25
	v_fmac_f32_e32 v45, v50, v2
	v_fma_f32 v3, v50, v3, -v46
	;; [unrolled: 2-line block ×6, first 2 shown]
	v_sub_f32_e32 v0, v12, v24
	v_sub_f32_e32 v1, v13, v1
	;; [unrolled: 1-line block ×12, first 2 shown]
	v_fma_f32 v10, v12, 2.0, -v0
	v_fma_f32 v11, v13, 2.0, -v1
	;; [unrolled: 1-line block ×12, first 2 shown]
	ds_write2_b64 v48, v[10:11], v[0:1] offset1:2
	ds_write2_b64 v49, v[12:13], v[2:3] offset1:2
	;; [unrolled: 1-line block ×5, first 2 shown]
	s_and_saveexec_b64 s[6:7], s[0:1]
	s_cbranch_execz .LBB0_21
; %bb.20:
	v_lshlrev_b32_e32 v0, 1, v33
	v_and_or_b32 v0, v0, s8, v38
	v_lshl_add_u32 v0, v0, 3, 0
	ds_write2_b64 v0, v[26:27], v[24:25] offset1:2
.LBB0_21:
	s_or_b64 exec, exec, s[6:7]
	v_add_u32_e32 v0, 0xe00, v36
	s_waitcnt lgkmcnt(0)
	s_barrier
	ds_read2_b64 v[4:7], v0 offset0:36 offset1:212
	v_add_u32_e32 v0, 0x1c00, v36
	ds_read2_b64 v[8:11], v0 offset0:72 offset1:248
	v_add_u32_e32 v0, 0x2c00, v36
	;; [unrolled: 2-line block ×3, first 2 shown]
	ds_read_b64 v[32:33], v36
	ds_read_b64 v[28:29], v38
	s_movk_i32 s0, 0x84
	v_cmp_gt_u32_e64 s[0:1], s0, v35
	v_add_u32_e32 v39, v39, v30
	s_and_saveexec_b64 s[6:7], s[0:1]
	s_cbranch_execz .LBB0_23
; %bb.22:
	ds_read_b64 v[20:21], v39
	ds_read_b64 v[22:23], v36 offset:6688
	ds_read_b64 v[26:27], v36 offset:10560
	;; [unrolled: 1-line block ×3, first 2 shown]
.LBB0_23:
	s_or_b64 exec, exec, s[6:7]
	v_and_b32_e32 v45, 3, v35
	v_mul_u32_u24_e32 v0, 3, v45
	v_lshlrev_b32_e32 v46, 3, v0
	global_load_dwordx4 v[0:3], v46, s[12:13] offset:16
	global_load_dwordx2 v[30:31], v46, s[12:13] offset:32
	v_lshlrev_b32_e32 v46, 2, v35
	s_movk_i32 s6, 0x3f0
	v_lshlrev_b32_e32 v40, 2, v40
	s_movk_i32 s7, 0x7f0
	v_and_or_b32 v46, v46, s6, v45
	v_sub_u32_e32 v43, 0, v43
	v_sub_u32_e32 v44, 0, v44
	v_and_or_b32 v40, v40, s7, v45
	v_lshl_add_u32 v46, v46, 3, 0
	v_lshl_add_u32 v40, v40, 3, 0
	s_waitcnt vmcnt(0) lgkmcnt(0)
	s_barrier
	v_mul_f32_e32 v47, v1, v5
	v_mul_f32_e32 v48, v1, v4
	v_mul_f32_e32 v49, v3, v9
	v_mul_f32_e32 v50, v3, v8
	v_mul_f32_e32 v51, v31, v13
	v_mul_f32_e32 v52, v31, v12
	v_mul_f32_e32 v53, v1, v7
	v_mul_f32_e32 v54, v1, v6
	v_mul_f32_e32 v55, v3, v11
	v_mul_f32_e32 v56, v3, v10
	v_mul_f32_e32 v57, v31, v15
	v_mul_f32_e32 v58, v31, v14
	v_fmac_f32_e32 v47, v0, v4
	v_fma_f32 v4, v0, v5, -v48
	v_fmac_f32_e32 v49, v2, v8
	v_fma_f32 v5, v2, v9, -v50
	;; [unrolled: 2-line block ×6, first 2 shown]
	v_sub_f32_e32 v10, v32, v49
	v_sub_f32_e32 v11, v33, v5
	;; [unrolled: 1-line block ×8, first 2 shown]
	v_fma_f32 v32, v32, 2.0, -v10
	v_fma_f32 v33, v33, 2.0, -v11
	;; [unrolled: 1-line block ×8, first 2 shown]
	v_add_f32_e32 v4, v10, v8
	v_sub_f32_e32 v5, v11, v5
	v_add_f32_e32 v6, v14, v9
	v_sub_f32_e32 v7, v15, v7
	v_sub_f32_e32 v8, v32, v12
	;; [unrolled: 1-line block ×5, first 2 shown]
	v_fma_f32 v10, v10, 2.0, -v4
	v_fma_f32 v11, v11, 2.0, -v5
	;; [unrolled: 1-line block ×8, first 2 shown]
	ds_write2_b64 v46, v[8:9], v[4:5] offset0:8 offset1:12
	ds_write2_b64 v46, v[28:29], v[10:11] offset1:4
	ds_write2_b64 v40, v[32:33], v[14:15] offset1:4
	ds_write2_b64 v40, v[12:13], v[6:7] offset0:8 offset1:12
	s_and_saveexec_b64 s[6:7], s[0:1]
	s_cbranch_execz .LBB0_25
; %bb.24:
	v_mul_f32_e32 v4, v26, v3
	v_fma_f32 v4, v27, v2, -v4
	v_sub_f32_e32 v7, v21, v4
	v_mul_f32_e32 v9, v23, v1
	v_mul_f32_e32 v4, v25, v31
	;; [unrolled: 1-line block ×3, first 2 shown]
	v_fmac_f32_e32 v9, v22, v0
	v_fmac_f32_e32 v4, v24, v30
	v_mul_f32_e32 v3, v27, v3
	v_fma_f32 v0, v23, v0, -v1
	v_mul_f32_e32 v1, v24, v31
	v_sub_f32_e32 v10, v9, v4
	v_fmac_f32_e32 v3, v26, v2
	v_fma_f32 v1, v25, v30, -v1
	v_sub_f32_e32 v4, v7, v10
	v_sub_f32_e32 v2, v20, v3
	;; [unrolled: 1-line block ×3, first 2 shown]
	v_fma_f32 v6, v7, 2.0, -v4
	v_add_f32_e32 v3, v2, v1
	v_fma_f32 v7, v21, 2.0, -v7
	v_fma_f32 v0, v0, 2.0, -v1
	;; [unrolled: 1-line block ×3, first 2 shown]
	v_sub_f32_e32 v1, v7, v0
	v_fma_f32 v2, v20, 2.0, -v2
	v_fma_f32 v0, v9, 2.0, -v10
	v_sub_f32_e32 v0, v2, v0
	v_fma_f32 v8, v7, 2.0, -v1
	v_fma_f32 v7, v2, 2.0, -v0
	v_lshlrev_b32_e32 v2, 2, v37
	s_movk_i32 s0, 0xff0
	v_and_or_b32 v2, v2, s0, v45
	v_lshl_add_u32 v2, v2, 3, 0
	ds_write2_b64 v2, v[7:8], v[5:6] offset1:4
	ds_write2_b64 v2, v[0:1], v[3:4] offset0:8 offset1:12
.LBB0_25:
	s_or_b64 exec, exec, s[6:7]
	v_and_b32_e32 v2, 15, v35
	v_mul_u32_u24_e32 v0, 10, v2
	v_lshlrev_b32_e32 v0, 3, v0
	s_waitcnt lgkmcnt(0)
	s_barrier
	global_load_dwordx4 v[7:10], v0, s[12:13] offset:112
	global_load_dwordx4 v[11:14], v0, s[12:13] offset:128
	;; [unrolled: 1-line block ×5, first 2 shown]
	ds_read_b64 v[32:33], v36 offset:14080
	ds_read_b64 v[48:49], v36
	ds_read_b64 v[50:51], v39
	v_add_u32_e32 v5, v41, v43
	v_add_u32_e32 v4, v42, v44
	v_lshl_add_u32 v0, v35, 3, 0
	v_add_u32_e32 v1, 0x2000, v36
	v_add_u32_e32 v6, 0x2c00, v36
	ds_read_b64 v[52:53], v38
	ds_read_b64 v[54:55], v5
	;; [unrolled: 1-line block ×3, first 2 shown]
	ds_read_b64 v[58:59], v0 offset:7040
	ds_read2_b64 v[40:43], v1 offset0:32 offset1:208
	ds_read2_b64 v[44:47], v6 offset1:176
	s_mov_b32 s0, 0x3f575c64
	s_mov_b32 s1, 0x3ed4b147
	;; [unrolled: 1-line block ×5, first 2 shown]
	s_waitcnt vmcnt(0) lgkmcnt(0)
	s_barrier
	v_mul_f32_e32 v3, v8, v53
	v_mul_f32_e32 v8, v8, v52
	;; [unrolled: 1-line block ×12, first 2 shown]
	v_fmac_f32_e32 v3, v7, v52
	v_fma_f32 v7, v7, v53, -v8
	v_mul_f32_e32 v61, v21, v59
	v_mul_f32_e32 v21, v21, v58
	;; [unrolled: 1-line block ×6, first 2 shown]
	v_fmac_f32_e32 v15, v9, v50
	v_fma_f32 v9, v9, v51, -v10
	v_fmac_f32_e32 v37, v11, v54
	v_fma_f32 v10, v11, v55, -v12
	;; [unrolled: 2-line block ×4, first 2 shown]
	v_fma_f32 v8, v33, v30, -v31
	v_add_f32_e32 v22, v3, v48
	v_add_f32_e32 v23, v7, v49
	v_fmac_f32_e32 v61, v20, v58
	v_fma_f32 v12, v20, v59, -v21
	v_fma_f32 v14, v43, v24, -v25
	v_fmac_f32_e32 v64, v44, v26
	v_fma_f32 v20, v45, v26, -v27
	v_add_f32_e32 v25, v7, v8
	v_sub_f32_e32 v26, v7, v8
	v_add_f32_e32 v7, v22, v15
	v_add_f32_e32 v22, v23, v9
	;; [unrolled: 1-line block ×5, first 2 shown]
	v_mul_f32_e32 v65, v47, v29
	v_mul_f32_e32 v29, v46, v29
	v_add_f32_e32 v22, v22, v13
	v_fma_f32 v21, v47, v28, -v29
	v_fmac_f32_e32 v66, v32, v30
	v_mul_f32_e32 v23, 0xbf0a6770, v26
	v_add_f32_e32 v22, v22, v14
	v_mul_f32_e32 v29, 0xbf68dda4, v26
	v_mul_f32_e32 v33, 0xbf7d64f0, v26
	;; [unrolled: 1-line block ×4, first 2 shown]
	v_fmac_f32_e32 v63, v42, v24
	v_fmac_f32_e32 v65, v46, v28
	v_add_f32_e32 v24, v3, v66
	v_mov_b32_e32 v28, v23
	v_add_f32_e32 v22, v22, v20
	v_mov_b32_e32 v30, v29
	v_mov_b32_e32 v40, v33
	;; [unrolled: 1-line block ×4, first 2 shown]
	v_sub_f32_e32 v3, v3, v66
	v_mul_f32_e32 v27, 0x3f575c64, v25
	v_fmac_f32_e32 v28, 0x3f575c64, v24
	v_add_f32_e32 v22, v22, v21
	v_fma_f32 v23, v24, s0, -v23
	v_fmac_f32_e32 v30, 0x3ed4b147, v24
	v_mul_f32_e32 v31, 0x3ed4b147, v25
	v_fma_f32 v29, v24, s1, -v29
	v_fmac_f32_e32 v40, 0xbe11bafb, v24
	v_mul_f32_e32 v41, 0xbe11bafb, v25
	;; [unrolled: 3-line block ×4, first 2 shown]
	v_fma_f32 v24, v24, s8, -v26
	v_add_f32_e32 v26, v9, v21
	v_sub_f32_e32 v9, v9, v21
	v_add_f32_e32 v8, v22, v8
	v_mov_b32_e32 v22, v27
	v_mov_b32_e32 v32, v31
	;; [unrolled: 1-line block ×5, first 2 shown]
	v_fmac_f32_e32 v25, 0xbe903f40, v3
	v_mul_f32_e32 v21, 0xbf68dda4, v9
	v_add_f32_e32 v28, v28, v48
	v_fmac_f32_e32 v22, 0x3f0a6770, v3
	v_add_f32_e32 v23, v23, v48
	v_fmac_f32_e32 v27, 0xbf0a6770, v3
	;; [unrolled: 2-line block ×9, first 2 shown]
	v_add_f32_e32 v24, v24, v48
	v_add_f32_e32 v3, v25, v49
	;; [unrolled: 1-line block ×3, first 2 shown]
	v_mov_b32_e32 v48, v21
	v_fmac_f32_e32 v48, 0x3ed4b147, v25
	v_sub_f32_e32 v15, v15, v65
	v_add_f32_e32 v28, v48, v28
	v_mul_f32_e32 v48, 0x3ed4b147, v26
	v_add_f32_e32 v22, v22, v49
	v_add_f32_e32 v27, v27, v49
	;; [unrolled: 1-line block ×9, first 2 shown]
	v_mov_b32_e32 v49, v48
	v_fma_f32 v21, v25, s1, -v21
	v_fmac_f32_e32 v48, 0xbf68dda4, v15
	v_add_f32_e32 v21, v21, v23
	v_add_f32_e32 v23, v48, v27
	v_mul_f32_e32 v27, 0xbf4178ce, v9
	v_mov_b32_e32 v48, v27
	v_fmac_f32_e32 v48, 0xbf27a4f4, v25
	v_fmac_f32_e32 v49, 0x3f68dda4, v15
	v_add_f32_e32 v30, v48, v30
	v_mul_f32_e32 v48, 0xbf27a4f4, v26
	v_add_f32_e32 v22, v49, v22
	v_mov_b32_e32 v49, v48
	v_fma_f32 v27, v25, s7, -v27
	v_fmac_f32_e32 v48, 0xbf4178ce, v15
	v_add_f32_e32 v27, v27, v29
	v_add_f32_e32 v29, v48, v31
	v_mul_f32_e32 v31, 0x3e903f40, v9
	v_mov_b32_e32 v48, v31
	v_fmac_f32_e32 v48, 0xbf75a155, v25
	v_fmac_f32_e32 v49, 0x3f4178ce, v15
	v_add_f32_e32 v40, v48, v40
	v_mul_f32_e32 v48, 0xbf75a155, v26
	v_add_f32_e32 v32, v49, v32
	;; [unrolled: 12-line block ×3, first 2 shown]
	v_mov_b32_e32 v49, v48
	v_fma_f32 v41, v25, s6, -v41
	v_fmac_f32_e32 v48, 0x3f7d64f0, v15
	v_mul_f32_e32 v9, 0x3f0a6770, v9
	v_add_f32_e32 v41, v41, v43
	v_add_f32_e32 v43, v48, v45
	v_mov_b32_e32 v45, v9
	v_fma_f32 v9, v25, s0, -v9
	v_fmac_f32_e32 v45, 0x3f575c64, v25
	v_mul_f32_e32 v26, 0x3f575c64, v26
	v_add_f32_e32 v9, v9, v24
	v_add_f32_e32 v24, v10, v20
	v_sub_f32_e32 v10, v10, v20
	v_add_f32_e32 v45, v45, v47
	v_mov_b32_e32 v47, v26
	v_fmac_f32_e32 v26, 0x3f0a6770, v15
	v_mul_f32_e32 v20, 0xbf7d64f0, v10
	v_fmac_f32_e32 v49, 0xbf7d64f0, v15
	v_fmac_f32_e32 v47, 0xbf0a6770, v15
	v_add_f32_e32 v3, v26, v3
	v_add_f32_e32 v15, v37, v64
	v_mov_b32_e32 v26, v20
	v_fmac_f32_e32 v26, 0xbe11bafb, v15
	v_sub_f32_e32 v25, v37, v64
	v_add_f32_e32 v26, v26, v28
	v_mul_f32_e32 v28, 0xbe11bafb, v24
	v_add_f32_e32 v7, v7, v37
	v_mov_b32_e32 v37, v28
	v_fma_f32 v20, v15, s6, -v20
	v_fmac_f32_e32 v28, 0xbf7d64f0, v25
	v_add_f32_e32 v20, v20, v21
	v_add_f32_e32 v21, v28, v23
	v_mul_f32_e32 v23, 0x3e903f40, v10
	v_mov_b32_e32 v28, v23
	v_fmac_f32_e32 v28, 0xbf75a155, v15
	v_fmac_f32_e32 v37, 0x3f7d64f0, v25
	v_add_f32_e32 v28, v28, v30
	v_mul_f32_e32 v30, 0xbf75a155, v24
	v_add_f32_e32 v22, v37, v22
	v_mov_b32_e32 v37, v30
	v_fma_f32 v23, v15, s8, -v23
	v_fmac_f32_e32 v30, 0x3e903f40, v25
	v_add_f32_e32 v23, v23, v27
	v_add_f32_e32 v27, v30, v29
	v_mul_f32_e32 v29, 0x3f68dda4, v10
	v_fmac_f32_e32 v37, 0xbe903f40, v25
	v_mov_b32_e32 v30, v29
	v_add_f32_e32 v32, v37, v32
	v_fmac_f32_e32 v30, 0x3ed4b147, v15
	v_mul_f32_e32 v37, 0x3ed4b147, v24
	v_add_f32_e32 v30, v30, v40
	v_mov_b32_e32 v40, v37
	v_fma_f32 v29, v15, s1, -v29
	v_fmac_f32_e32 v37, 0x3f68dda4, v25
	v_add_f32_e32 v29, v29, v31
	v_add_f32_e32 v31, v37, v33
	v_mul_f32_e32 v33, 0xbf0a6770, v10
	v_fmac_f32_e32 v40, 0xbf68dda4, v25
	v_mov_b32_e32 v37, v33
	v_add_f32_e32 v40, v40, v42
	v_fmac_f32_e32 v37, 0x3f575c64, v15
	v_mul_f32_e32 v42, 0x3f575c64, v24
	v_add_f32_e32 v37, v37, v44
	v_mov_b32_e32 v44, v42
	v_fma_f32 v33, v15, s0, -v33
	v_fmac_f32_e32 v42, 0xbf0a6770, v25
	v_mul_f32_e32 v10, 0xbf4178ce, v10
	v_add_f32_e32 v33, v33, v41
	v_add_f32_e32 v41, v42, v43
	v_mov_b32_e32 v42, v10
	v_fmac_f32_e32 v42, 0xbf27a4f4, v15
	v_mul_f32_e32 v24, 0xbf27a4f4, v24
	v_fma_f32 v10, v15, s7, -v10
	v_add_f32_e32 v15, v11, v14
	v_sub_f32_e32 v11, v11, v14
	v_mov_b32_e32 v43, v24
	v_mul_f32_e32 v14, 0xbf4178ce, v11
	v_fmac_f32_e32 v44, 0x3f0a6770, v25
	v_fmac_f32_e32 v43, 0x3f4178ce, v25
	v_add_f32_e32 v9, v10, v9
	v_fmac_f32_e32 v24, 0xbf4178ce, v25
	v_add_f32_e32 v10, v60, v63
	v_mov_b32_e32 v25, v14
	v_fmac_f32_e32 v25, 0xbf27a4f4, v10
	v_add_f32_e32 v3, v24, v3
	v_sub_f32_e32 v24, v60, v63
	v_add_f32_e32 v25, v25, v26
	v_mul_f32_e32 v26, 0xbf27a4f4, v15
	v_add_f32_e32 v42, v42, v45
	v_mov_b32_e32 v45, v26
	v_fma_f32 v14, v10, s7, -v14
	v_fmac_f32_e32 v26, 0xbf4178ce, v24
	v_add_f32_e32 v14, v14, v20
	v_add_f32_e32 v20, v26, v21
	v_mul_f32_e32 v21, 0x3f7d64f0, v11
	v_mov_b32_e32 v26, v21
	v_fmac_f32_e32 v26, 0xbe11bafb, v10
	v_fmac_f32_e32 v45, 0x3f4178ce, v24
	v_add_f32_e32 v26, v26, v28
	v_mul_f32_e32 v28, 0xbe11bafb, v15
	v_add_f32_e32 v22, v45, v22
	v_mov_b32_e32 v45, v28
	v_fma_f32 v21, v10, s6, -v21
	v_fmac_f32_e32 v28, 0x3f7d64f0, v24
	v_add_f32_e32 v21, v21, v23
	v_add_f32_e32 v23, v28, v27
	v_mul_f32_e32 v27, 0xbf0a6770, v11
	v_mov_b32_e32 v28, v27
	v_fmac_f32_e32 v28, 0x3f575c64, v10
	v_fmac_f32_e32 v45, 0xbf7d64f0, v24
	;; [unrolled: 12-line block ×3, first 2 shown]
	v_add_f32_e32 v31, v31, v37
	v_mul_f32_e32 v37, 0xbf75a155, v15
	v_add_f32_e32 v40, v45, v40
	v_mov_b32_e32 v45, v37
	v_fma_f32 v30, v10, s8, -v30
	v_fmac_f32_e32 v37, 0xbe903f40, v24
	v_mul_f32_e32 v15, 0x3ed4b147, v15
	v_add_f32_e32 v47, v47, v50
	v_add_f32_e32 v30, v30, v33
	;; [unrolled: 1-line block ×3, first 2 shown]
	v_mov_b32_e32 v41, v15
	v_add_f32_e32 v43, v43, v47
	v_mul_f32_e32 v11, 0x3f68dda4, v11
	v_fmac_f32_e32 v41, 0xbf68dda4, v24
	v_add_f32_e32 v46, v49, v46
	v_mov_b32_e32 v37, v11
	v_add_f32_e32 v41, v41, v43
	v_add_f32_e32 v43, v12, v13
	;; [unrolled: 1-line block ×3, first 2 shown]
	v_fmac_f32_e32 v45, 0x3e903f40, v24
	v_fmac_f32_e32 v37, 0x3ed4b147, v10
	v_fma_f32 v10, v10, s1, -v11
	v_sub_f32_e32 v46, v12, v13
	v_mul_f32_e32 v12, 0xbf75a155, v43
	v_add_f32_e32 v44, v45, v44
	v_add_f32_e32 v37, v37, v42
	;; [unrolled: 1-line block ×3, first 2 shown]
	v_fmac_f32_e32 v15, 0x3f68dda4, v24
	v_sub_f32_e32 v45, v61, v62
	v_mov_b32_e32 v10, v12
	v_add_f32_e32 v3, v15, v3
	v_add_f32_e32 v15, v61, v62
	v_mul_f32_e32 v11, 0xbe903f40, v46
	v_fmac_f32_e32 v10, 0x3e903f40, v45
	v_fmac_f32_e32 v12, 0xbe903f40, v45
	v_mov_b32_e32 v9, v11
	v_add_f32_e32 v10, v10, v22
	v_fma_f32 v11, v15, s8, -v11
	v_add_f32_e32 v12, v12, v20
	v_mul_f32_e32 v20, 0x3f0a6770, v46
	v_mul_f32_e32 v22, 0x3f575c64, v43
	v_fmac_f32_e32 v9, 0xbf75a155, v15
	v_add_f32_e32 v11, v11, v14
	v_mov_b32_e32 v13, v20
	v_mov_b32_e32 v14, v22
	v_fma_f32 v20, v15, s0, -v20
	v_fmac_f32_e32 v22, 0x3f0a6770, v45
	v_mul_f32_e32 v24, 0xbf4178ce, v46
	v_add_f32_e32 v9, v9, v25
	v_add_f32_e32 v20, v20, v21
	;; [unrolled: 1-line block ×3, first 2 shown]
	v_mov_b32_e32 v22, v24
	v_mul_f32_e32 v25, 0xbf27a4f4, v43
	v_fmac_f32_e32 v22, 0xbf27a4f4, v15
	v_mov_b32_e32 v23, v25
	v_fmac_f32_e32 v25, 0xbf4178ce, v45
	v_fmac_f32_e32 v13, 0x3f575c64, v15
	v_add_f32_e32 v22, v22, v28
	v_fma_f32 v24, v15, s7, -v24
	v_add_f32_e32 v25, v25, v29
	v_mul_f32_e32 v28, 0x3f68dda4, v46
	v_mul_f32_e32 v29, 0x3ed4b147, v43
	v_add_f32_e32 v7, v7, v60
	v_add_f32_e32 v13, v13, v26
	;; [unrolled: 1-line block ×3, first 2 shown]
	v_mov_b32_e32 v26, v28
	v_mov_b32_e32 v27, v29
	v_fmac_f32_e32 v29, 0x3f68dda4, v45
	v_add_f32_e32 v7, v7, v61
	v_fmac_f32_e32 v26, 0x3ed4b147, v15
	v_add_f32_e32 v29, v29, v33
	v_mul_f32_e32 v33, 0xbe11bafb, v43
	v_add_f32_e32 v7, v7, v62
	v_add_f32_e32 v26, v26, v31
	v_mov_b32_e32 v31, v33
	v_fmac_f32_e32 v33, 0xbf7d64f0, v45
	v_add_f32_e32 v7, v7, v63
	v_fmac_f32_e32 v14, 0xbf0a6770, v45
	v_add_f32_e32 v33, v33, v3
	v_lshrrev_b32_e32 v3, 4, v35
	v_add_f32_e32 v7, v7, v64
	v_add_f32_e32 v14, v14, v32
	v_fma_f32 v28, v15, s1, -v28
	v_mul_f32_e32 v32, 0xbf7d64f0, v46
	v_mul_u32_u24_e32 v3, 0xb0, v3
	v_add_f32_e32 v7, v7, v65
	v_add_f32_e32 v28, v28, v30
	v_mov_b32_e32 v30, v32
	v_or_b32_e32 v2, v3, v2
	v_add_f32_e32 v7, v7, v66
	v_fmac_f32_e32 v23, 0x3f4178ce, v45
	v_fmac_f32_e32 v27, 0xbf68dda4, v45
	;; [unrolled: 1-line block ×4, first 2 shown]
	v_fma_f32 v15, v15, s6, -v32
	v_lshl_add_u32 v2, v2, 3, 0
	v_add_f32_e32 v23, v23, v40
	v_add_f32_e32 v27, v27, v44
	;; [unrolled: 1-line block ×5, first 2 shown]
	ds_write2_b64 v2, v[7:8], v[9:10] offset1:16
	ds_write2_b64 v2, v[13:14], v[22:23] offset0:32 offset1:48
	ds_write2_b64 v2, v[26:27], v[30:31] offset0:64 offset1:80
	;; [unrolled: 1-line block ×4, first 2 shown]
	ds_write_b64 v2, v[11:12] offset:1280
	s_waitcnt lgkmcnt(0)
	s_barrier
	s_and_saveexec_b64 s[14:15], vcc
	s_cbranch_execz .LBB0_27
; %bb.26:
	v_mul_u32_u24_e32 v2, 10, v35
	v_lshlrev_b32_e32 v2, 3, v2
	global_load_dwordx4 v[7:10], v2, s[12:13] offset:1392
	global_load_dwordx4 v[11:14], v2, s[12:13] offset:1456
	;; [unrolled: 1-line block ×5, first 2 shown]
	v_mul_lo_u32 v15, s5, v18
	v_mul_lo_u32 v49, s4, v19
	v_mad_u64_u32 v[2:3], s[4:5], s4, v18, 0
	ds_read_b64 v[18:19], v36 offset:14080
	ds_read_b64 v[32:33], v36
	ds_read_b64 v[43:44], v39
	ds_read2_b64 v[39:42], v6 offset1:176
	ds_read_b64 v[45:46], v38
	ds_read_b64 v[5:6], v5
	;; [unrolled: 1-line block ×3, first 2 shown]
	ds_read2_b64 v[35:38], v1 offset0:32 offset1:208
	ds_read_b64 v[0:1], v0 offset:7040
	v_add3_u32 v3, v3, v49, v15
	v_lshlrev_b64 v[2:3], 3, v[2:3]
	s_waitcnt vmcnt(4) lgkmcnt(4)
	v_mul_f32_e32 v49, v8, v46
	s_waitcnt vmcnt(3)
	v_mul_f32_e32 v50, v14, v19
	v_mul_f32_e32 v51, v10, v44
	;; [unrolled: 1-line block ×3, first 2 shown]
	s_waitcnt vmcnt(2) lgkmcnt(3)
	v_mul_f32_e32 v53, v21, v6
	v_mul_f32_e32 v15, v21, v5
	s_waitcnt vmcnt(1) lgkmcnt(1)
	v_mul_f32_e32 v55, v25, v38
	v_mul_f32_e32 v21, v37, v25
	;; [unrolled: 3-line block ×3, first 2 shown]
	v_fmac_f32_e32 v50, v13, v18
	v_fmac_f32_e32 v49, v7, v45
	v_mul_f32_e32 v4, v18, v14
	v_mul_f32_e32 v8, v8, v45
	;; [unrolled: 1-line block ×9, first 2 shown]
	v_fmac_f32_e32 v52, v11, v41
	v_fmac_f32_e32 v51, v9, v43
	;; [unrolled: 1-line block ×3, first 2 shown]
	v_fma_f32 v28, v28, v1, -v29
	v_sub_f32_e32 v29, v49, v50
	v_mul_f32_e32 v10, v10, v43
	v_fma_f32 v57, v13, v19, -v4
	v_fma_f32 v41, v11, v42, -v12
	;; [unrolled: 1-line block ×3, first 2 shown]
	v_fmac_f32_e32 v53, v20, v5
	v_fmac_f32_e32 v54, v26, v39
	;; [unrolled: 1-line block ×3, first 2 shown]
	v_fma_f32 v22, v22, v48, -v23
	v_fmac_f32_e32 v56, v30, v35
	v_fma_f32 v23, v30, v36, -v31
	v_sub_f32_e32 v30, v51, v52
	v_mul_f32_e32 v45, 0xbf0a6770, v29
	v_fma_f32 v43, v9, v44, -v10
	v_fma_f32 v39, v20, v6, -v15
	v_fmac_f32_e32 v55, v24, v37
	v_add_f32_e32 v20, v42, v57
	v_sub_f32_e32 v31, v53, v54
	v_mul_f32_e32 v46, 0xbf68dda4, v30
	v_mov_b32_e32 v0, v45
	v_fma_f32 v26, v26, v40, -v14
	v_fma_f32 v24, v24, v38, -v21
	v_add_f32_e32 v21, v43, v41
	v_sub_f32_e32 v36, v27, v55
	v_mul_f32_e32 v47, 0xbf7d64f0, v31
	v_mov_b32_e32 v1, v46
	v_fmac_f32_e32 v0, 0x3f575c64, v20
	v_add_f32_e32 v35, v39, v26
	v_sub_f32_e32 v38, v25, v56
	v_mul_f32_e32 v48, 0xbf4178ce, v36
	v_mov_b32_e32 v4, v47
	v_fmac_f32_e32 v1, 0x3ed4b147, v21
	v_add_f32_e32 v0, v0, v33
	v_add_f32_e32 v37, v22, v24
	v_mul_f32_e32 v58, 0xbe903f40, v38
	v_mov_b32_e32 v5, v48
	v_fmac_f32_e32 v4, 0xbe11bafb, v35
	v_add_f32_e32 v0, v0, v1
	v_add_f32_e32 v40, v28, v23
	v_sub_f32_e32 v12, v42, v57
	v_mov_b32_e32 v6, v58
	v_fmac_f32_e32 v5, 0xbf27a4f4, v37
	v_add_f32_e32 v0, v0, v4
	v_add_f32_e32 v44, v49, v50
	v_fmac_f32_e32 v6, 0xbf75a155, v40
	v_add_f32_e32 v0, v0, v5
	v_mul_f32_e32 v59, 0xbf0a6770, v12
	v_sub_f32_e32 v13, v43, v41
	v_add_f32_e32 v1, v0, v6
	v_fma_f32 v0, v44, s0, -v59
	v_add_f32_e32 v60, v51, v52
	v_mul_f32_e32 v61, 0xbf68dda4, v13
	v_sub_f32_e32 v14, v39, v26
	v_add_f32_e32 v0, v0, v32
	v_fma_f32 v4, v60, s1, -v61
	;; [unrolled: 5-line block ×4, first 2 shown]
	v_add_f32_e32 v66, v25, v56
	v_mul_f32_e32 v67, 0xbe903f40, v18
	v_add_f32_e32 v0, v0, v4
	v_fma_f32 v4, v66, s8, -v67
	v_mul_f32_e32 v19, 0xbf68dda4, v29
	v_add_f32_e32 v0, v0, v4
	v_mov_b32_e32 v4, v19
	v_mul_f32_e32 v68, 0xbf4178ce, v30
	v_fmac_f32_e32 v4, 0x3ed4b147, v20
	v_mov_b32_e32 v5, v68
	v_add_f32_e32 v4, v4, v33
	v_fmac_f32_e32 v5, 0xbf27a4f4, v21
	v_mul_f32_e32 v69, 0x3e903f40, v31
	v_add_f32_e32 v4, v4, v5
	v_mov_b32_e32 v5, v69
	v_fmac_f32_e32 v5, 0xbf75a155, v35
	v_mul_f32_e32 v70, 0x3f7d64f0, v36
	v_add_f32_e32 v4, v4, v5
	v_mov_b32_e32 v5, v70
	v_fmac_f32_e32 v5, 0xbe11bafb, v37
	v_mul_f32_e32 v71, 0xbf68dda4, v12
	v_add_f32_e32 v4, v4, v5
	v_fma_f32 v5, v44, s1, -v71
	v_mul_f32_e32 v72, 0xbf4178ce, v13
	v_add_f32_e32 v5, v5, v32
	v_fma_f32 v6, v60, s7, -v72
	;; [unrolled: 3-line block ×4, first 2 shown]
	v_mul_f32_e32 v75, 0x3f0a6770, v38
	v_add_f32_e32 v6, v5, v6
	v_mov_b32_e32 v5, v75
	v_fmac_f32_e32 v5, 0x3f575c64, v40
	v_mul_f32_e32 v76, 0x3f0a6770, v18
	v_add_f32_e32 v5, v4, v5
	v_fma_f32 v4, v66, s0, -v76
	v_mul_f32_e32 v77, 0xbf7d64f0, v29
	v_add_f32_e32 v4, v6, v4
	v_mov_b32_e32 v6, v77
	v_mul_f32_e32 v78, 0x3e903f40, v30
	v_fmac_f32_e32 v6, 0xbe11bafb, v20
	v_mov_b32_e32 v7, v78
	v_add_f32_e32 v6, v6, v33
	v_fmac_f32_e32 v7, 0xbf75a155, v21
	v_mul_f32_e32 v79, 0x3f68dda4, v31
	v_add_f32_e32 v6, v6, v7
	v_mov_b32_e32 v7, v79
	v_fmac_f32_e32 v7, 0x3ed4b147, v35
	v_mul_f32_e32 v80, 0xbf0a6770, v36
	v_add_f32_e32 v6, v6, v7
	v_mov_b32_e32 v7, v80
	v_fmac_f32_e32 v7, 0x3f575c64, v37
	v_mul_f32_e32 v81, 0xbf7d64f0, v12
	v_add_f32_e32 v6, v6, v7
	v_fma_f32 v7, v44, s6, -v81
	v_mul_f32_e32 v82, 0x3e903f40, v13
	v_add_f32_e32 v7, v7, v32
	v_fma_f32 v8, v60, s8, -v82
	;; [unrolled: 3-line block ×4, first 2 shown]
	v_mul_f32_e32 v85, 0xbf4178ce, v38
	v_add_f32_e32 v8, v7, v8
	v_mov_b32_e32 v7, v85
	v_fmac_f32_e32 v7, 0xbf27a4f4, v40
	v_mul_f32_e32 v86, 0xbf4178ce, v18
	v_add_f32_e32 v7, v6, v7
	v_fma_f32 v6, v66, s7, -v86
	v_mul_f32_e32 v10, 0xbe903f40, v29
	v_add_f32_e32 v6, v8, v6
	v_mov_b32_e32 v8, v10
	v_mul_f32_e32 v11, 0x3f0a6770, v30
	v_fmac_f32_e32 v8, 0xbf75a155, v20
	v_mov_b32_e32 v9, v11
	v_add_f32_e32 v8, v8, v33
	v_fmac_f32_e32 v9, 0x3f575c64, v21
	v_mul_f32_e32 v87, 0xbf4178ce, v31
	v_add_f32_e32 v8, v8, v9
	v_mov_b32_e32 v9, v87
	v_fmac_f32_e32 v9, 0xbf27a4f4, v35
	v_mul_f32_e32 v88, 0x3f68dda4, v36
	v_add_f32_e32 v8, v8, v9
	v_mov_b32_e32 v9, v88
	v_fmac_f32_e32 v9, 0x3ed4b147, v37
	v_mul_f32_e32 v89, 0xbe903f40, v12
	v_add_f32_e32 v8, v8, v9
	v_fma_f32 v9, v44, s8, -v89
	v_mul_f32_e32 v90, 0x3f0a6770, v13
	v_add_f32_e32 v9, v9, v32
	v_fma_f32 v91, v60, s0, -v90
	v_fma_f32 v10, v20, s8, -v10
	v_add_f32_e32 v9, v9, v91
	v_mul_f32_e32 v91, 0xbf4178ce, v14
	v_add_f32_e32 v10, v10, v33
	v_fma_f32 v11, v21, s0, -v11
	v_fma_f32 v92, v62, s7, -v91
	v_add_f32_e32 v10, v10, v11
	v_fma_f32 v11, v35, s7, -v87
	v_add_f32_e32 v9, v9, v92
	v_mul_f32_e32 v92, 0x3f68dda4, v15
	v_add_f32_e32 v10, v10, v11
	v_fma_f32 v11, v37, s1, -v88
	v_fmac_f32_e32 v89, 0xbf75a155, v44
	v_fma_f32 v93, v64, s1, -v92
	v_mul_f32_e32 v94, 0xbf7d64f0, v38
	v_add_f32_e32 v10, v10, v11
	v_add_f32_e32 v11, v89, v32
	v_fmac_f32_e32 v90, 0x3f575c64, v60
	v_add_f32_e32 v93, v9, v93
	v_mov_b32_e32 v9, v94
	v_add_f32_e32 v11, v11, v90
	v_fmac_f32_e32 v91, 0xbf27a4f4, v62
	v_fmac_f32_e32 v9, 0xbe11bafb, v40
	v_mul_f32_e32 v95, 0xbf7d64f0, v18
	v_add_f32_e32 v11, v11, v91
	v_fmac_f32_e32 v92, 0x3ed4b147, v64
	v_add_f32_e32 v9, v8, v9
	v_fma_f32 v8, v66, s6, -v95
	v_add_f32_e32 v87, v11, v92
	v_fma_f32 v11, v40, s6, -v94
	v_fmac_f32_e32 v95, 0xbe11bafb, v66
	v_add_f32_e32 v11, v10, v11
	v_add_f32_e32 v10, v87, v95
	v_mul_f32_e32 v87, 0xbf27a4f4, v20
	v_mov_b32_e32 v88, v87
	v_mul_f32_e32 v89, 0xbe11bafb, v21
	v_fmac_f32_e32 v88, 0x3f4178ce, v29
	v_mov_b32_e32 v90, v89
	v_add_f32_e32 v88, v88, v33
	v_fmac_f32_e32 v90, 0xbf7d64f0, v30
	v_add_f32_e32 v88, v88, v90
	v_mul_f32_e32 v90, 0x3f575c64, v35
	v_mov_b32_e32 v91, v90
	v_fmac_f32_e32 v91, 0x3f0a6770, v31
	v_add_f32_e32 v88, v88, v91
	v_mul_f32_e32 v91, 0xbf75a155, v37
	v_mov_b32_e32 v92, v91
	v_fmac_f32_e32 v92, 0x3e903f40, v36
	v_add_f32_e32 v88, v88, v92
	v_mul_f32_e32 v92, 0xbf4178ce, v12
	v_add_f32_e32 v8, v93, v8
	v_mov_b32_e32 v12, v92
	v_mul_f32_e32 v93, 0x3f7d64f0, v13
	v_fmac_f32_e32 v12, 0xbf27a4f4, v44
	v_mov_b32_e32 v13, v93
	v_add_f32_e32 v12, v12, v32
	v_fmac_f32_e32 v13, 0xbe11bafb, v60
	v_mul_f32_e32 v94, 0xbf0a6770, v14
	v_add_f32_e32 v12, v12, v13
	v_mov_b32_e32 v13, v94
	v_fmac_f32_e32 v13, 0x3f575c64, v62
	v_mul_f32_e32 v95, 0xbe903f40, v15
	v_add_f32_e32 v12, v12, v13
	v_mov_b32_e32 v13, v95
	;; [unrolled: 4-line block ×3, first 2 shown]
	v_fmac_f32_e32 v13, 0xbf68dda4, v38
	v_add_f32_e32 v13, v88, v13
	v_mul_f32_e32 v88, 0x3f68dda4, v18
	v_mov_b32_e32 v14, v88
	v_fmac_f32_e32 v14, 0x3ed4b147, v66
	v_add_f32_e32 v12, v12, v14
	v_fma_f32 v14, v20, s6, -v77
	v_add_f32_e32 v14, v14, v33
	v_fma_f32 v15, v21, s8, -v78
	;; [unrolled: 2-line block ×4, first 2 shown]
	v_fmac_f32_e32 v81, 0xbe11bafb, v44
	v_add_f32_e32 v14, v14, v15
	v_add_f32_e32 v15, v81, v32
	v_fmac_f32_e32 v82, 0xbf75a155, v60
	v_add_f32_e32 v15, v15, v82
	v_fmac_f32_e32 v83, 0x3ed4b147, v62
	;; [unrolled: 2-line block ×3, first 2 shown]
	v_add_f32_e32 v18, v15, v84
	v_fma_f32 v15, v40, s7, -v85
	v_fmac_f32_e32 v86, 0xbf27a4f4, v66
	v_add_f32_e32 v15, v14, v15
	v_add_f32_e32 v14, v18, v86
	v_fma_f32 v18, v20, s1, -v19
	v_fma_f32 v20, v20, s0, -v45
	v_add_f32_e32 v18, v18, v33
	v_fma_f32 v19, v21, s7, -v68
	v_fma_f32 v21, v21, s1, -v46
	v_add_f32_e32 v20, v20, v33
	v_fmac_f32_e32 v59, 0x3f575c64, v44
	v_add_f32_e32 v18, v18, v19
	v_fma_f32 v19, v35, s8, -v69
	v_add_f32_e32 v20, v20, v21
	v_fma_f32 v21, v35, s6, -v47
	v_add_f32_e32 v35, v59, v32
	v_fmac_f32_e32 v61, 0x3ed4b147, v60
	v_add_f32_e32 v35, v35, v61
	v_fmac_f32_e32 v63, 0xbe11bafb, v62
	v_add_f32_e32 v20, v20, v21
	v_fma_f32 v21, v37, s7, -v48
	v_add_f32_e32 v35, v35, v63
	v_fmac_f32_e32 v65, 0xbf27a4f4, v64
	v_add_f32_e32 v20, v20, v21
	v_fma_f32 v21, v40, s8, -v58
	v_add_f32_e32 v35, v35, v65
	v_fmac_f32_e32 v67, 0xbf75a155, v66
	v_add_f32_e32 v21, v20, v21
	v_add_f32_e32 v20, v35, v67
	;; [unrolled: 1-line block ×11, first 2 shown]
	v_fmac_f32_e32 v87, 0xbf4178ce, v29
	v_add_f32_e32 v23, v57, v22
	v_add_f32_e32 v22, v49, v32
	;; [unrolled: 1-line block ×3, first 2 shown]
	v_fmac_f32_e32 v89, 0x3f7d64f0, v30
	v_add_f32_e32 v22, v22, v51
	v_add_f32_e32 v24, v24, v89
	v_fmac_f32_e32 v90, 0xbf0a6770, v31
	v_add_f32_e32 v22, v22, v53
	v_add_f32_e32 v24, v24, v90
	;; [unrolled: 3-line block ×4, first 2 shown]
	v_fma_f32 v24, v44, s7, -v92
	v_add_f32_e32 v24, v24, v32
	v_fma_f32 v26, v60, s6, -v93
	v_add_f32_e32 v24, v24, v26
	v_mad_u64_u32 v[26:27], s[4:5], s2, v34, 0
	v_fma_f32 v28, v62, s0, -v94
	v_add_f32_e32 v29, v24, v28
	v_mov_b32_e32 v24, v27
	v_fma_f32 v30, v64, s8, -v95
	v_mad_u64_u32 v[27:28], s[4:5], s3, v34, v[24:25]
	v_add_f32_e32 v24, v29, v30
	v_fma_f32 v28, v66, s1, -v88
	v_add_f32_e32 v24, v24, v28
	v_mov_b32_e32 v28, s11
	v_add_co_u32_e32 v29, vcc, s10, v2
	v_add_f32_e32 v18, v18, v19
	v_fma_f32 v19, v37, s6, -v70
	v_fmac_f32_e32 v71, 0x3ed4b147, v44
	v_addc_co_u32_e32 v28, vcc, v28, v3, vcc
	v_lshlrev_b64 v[2:3], 3, v[16:17]
	v_add_f32_e32 v18, v18, v19
	v_add_f32_e32 v19, v71, v32
	v_fmac_f32_e32 v72, 0xbf27a4f4, v60
	v_add_f32_e32 v19, v19, v72
	v_fmac_f32_e32 v73, 0xbf75a155, v62
	v_add_co_u32_e32 v29, vcc, v29, v2
	v_add_f32_e32 v19, v19, v73
	v_fmac_f32_e32 v74, 0xbe11bafb, v64
	v_addc_co_u32_e32 v30, vcc, v28, v3, vcc
	v_lshlrev_b64 v[2:3], 3, v[26:27]
	v_add_u32_e32 v26, 0xb0, v34
	v_add_f32_e32 v68, v19, v74
	v_fma_f32 v19, v40, s0, -v75
	v_mad_u64_u32 v[16:17], s[0:1], s2, v26, 0
	v_fmac_f32_e32 v76, 0x3f575c64, v66
	v_add_f32_e32 v19, v18, v19
	v_add_f32_e32 v18, v68, v76
	;; [unrolled: 1-line block ×3, first 2 shown]
	v_mad_u64_u32 v[26:27], s[0:1], s3, v26, v[17:18]
	v_add_u32_e32 v31, 0x160, v34
	v_add_f32_e32 v22, v55, v22
	v_mad_u64_u32 v[27:28], s[0:1], s2, v31, 0
	v_add_f32_e32 v22, v54, v22
	v_add_f32_e32 v22, v52, v22
	v_add_co_u32_e32 v2, vcc, v29, v2
	v_add_f32_e32 v22, v50, v22
	v_addc_co_u32_e32 v3, vcc, v30, v3, vcc
	v_mov_b32_e32 v17, v26
	global_store_dwordx2 v[2:3], v[22:23], off
	v_lshlrev_b64 v[2:3], 3, v[16:17]
	v_mov_b32_e32 v16, v28
	v_mad_u64_u32 v[16:17], s[0:1], s3, v31, v[16:17]
	v_add_co_u32_e32 v2, vcc, v29, v2
	v_addc_co_u32_e32 v3, vcc, v30, v3, vcc
	global_store_dwordx2 v[2:3], v[20:21], off
	v_add_u32_e32 v20, 0x210, v34
	v_mov_b32_e32 v28, v16
	v_mad_u64_u32 v[16:17], s[0:1], s2, v20, 0
	v_add_u32_e32 v23, 0x2c0, v34
	v_lshlrev_b64 v[2:3], 3, v[27:28]
	v_mad_u64_u32 v[20:21], s[0:1], s3, v20, v[17:18]
	v_mad_u64_u32 v[21:22], s[0:1], s2, v23, 0
	v_add_co_u32_e32 v2, vcc, v29, v2
	v_addc_co_u32_e32 v3, vcc, v30, v3, vcc
	v_mov_b32_e32 v17, v20
	global_store_dwordx2 v[2:3], v[18:19], off
	v_lshlrev_b64 v[2:3], 3, v[16:17]
	v_mov_b32_e32 v16, v22
	v_mad_u64_u32 v[16:17], s[0:1], s3, v23, v[16:17]
	v_add_co_u32_e32 v2, vcc, v29, v2
	v_addc_co_u32_e32 v3, vcc, v30, v3, vcc
	v_mov_b32_e32 v22, v16
	v_add_u32_e32 v16, 0x370, v34
	global_store_dwordx2 v[2:3], v[14:15], off
	v_mad_u64_u32 v[14:15], s[0:1], s2, v16, 0
	v_add_u32_e32 v18, 0x420, v34
	v_lshlrev_b64 v[2:3], 3, v[21:22]
	v_mad_u64_u32 v[15:16], s[0:1], s3, v16, v[15:16]
	v_mad_u64_u32 v[16:17], s[0:1], s2, v18, 0
	v_add_co_u32_e32 v2, vcc, v29, v2
	v_addc_co_u32_e32 v3, vcc, v30, v3, vcc
	global_store_dwordx2 v[2:3], v[12:13], off
	v_mov_b32_e32 v12, v17
	v_mad_u64_u32 v[12:13], s[0:1], s3, v18, v[12:13]
	v_lshlrev_b64 v[2:3], 3, v[14:15]
	v_add_u32_e32 v14, 0x580, v34
	v_add_co_u32_e32 v2, vcc, v29, v2
	v_addc_co_u32_e32 v3, vcc, v30, v3, vcc
	v_mov_b32_e32 v17, v12
	v_add_u32_e32 v12, 0x4d0, v34
	global_store_dwordx2 v[2:3], v[10:11], off
	v_mad_u64_u32 v[10:11], s[0:1], s2, v12, 0
	v_lshlrev_b64 v[2:3], 3, v[16:17]
	v_mad_u64_u32 v[11:12], s[0:1], s3, v12, v[11:12]
	v_mad_u64_u32 v[12:13], s[0:1], s2, v14, 0
	v_add_co_u32_e32 v2, vcc, v29, v2
	v_addc_co_u32_e32 v3, vcc, v30, v3, vcc
	global_store_dwordx2 v[2:3], v[8:9], off
	v_mov_b32_e32 v8, v13
	v_mad_u64_u32 v[8:9], s[0:1], s3, v14, v[8:9]
	v_lshlrev_b64 v[2:3], 3, v[10:11]
	v_add_u32_e32 v10, 0x630, v34
	v_mov_b32_e32 v13, v8
	v_mad_u64_u32 v[8:9], s[0:1], s2, v10, 0
	v_add_co_u32_e32 v2, vcc, v29, v2
	v_addc_co_u32_e32 v3, vcc, v30, v3, vcc
	global_store_dwordx2 v[2:3], v[24:25], off
	v_lshlrev_b64 v[2:3], 3, v[12:13]
	v_mad_u64_u32 v[9:10], s[0:1], s3, v10, v[9:10]
	v_add_u32_e32 v12, 0x6e0, v34
	v_mad_u64_u32 v[10:11], s[0:1], s2, v12, 0
	v_add_co_u32_e32 v2, vcc, v29, v2
	v_addc_co_u32_e32 v3, vcc, v30, v3, vcc
	global_store_dwordx2 v[2:3], v[6:7], off
	v_mov_b32_e32 v6, v11
	v_mad_u64_u32 v[6:7], s[0:1], s3, v12, v[6:7]
	v_lshlrev_b64 v[2:3], 3, v[8:9]
	v_add_co_u32_e32 v2, vcc, v29, v2
	v_addc_co_u32_e32 v3, vcc, v30, v3, vcc
	v_mov_b32_e32 v11, v6
	global_store_dwordx2 v[2:3], v[4:5], off
	v_lshlrev_b64 v[2:3], 3, v[10:11]
	v_add_co_u32_e32 v2, vcc, v29, v2
	v_addc_co_u32_e32 v3, vcc, v30, v3, vcc
	global_store_dwordx2 v[2:3], v[0:1], off
.LBB0_27:
	s_endpgm
	.section	.rodata,"a",@progbits
	.p2align	6, 0x0
	.amdhsa_kernel fft_rtc_back_len1936_factors_2_2_4_11_11_wgs_176_tpt_176_sp_op_CI_CI_sbrr_dirReg
		.amdhsa_group_segment_fixed_size 0
		.amdhsa_private_segment_fixed_size 0
		.amdhsa_kernarg_size 104
		.amdhsa_user_sgpr_count 6
		.amdhsa_user_sgpr_private_segment_buffer 1
		.amdhsa_user_sgpr_dispatch_ptr 0
		.amdhsa_user_sgpr_queue_ptr 0
		.amdhsa_user_sgpr_kernarg_segment_ptr 1
		.amdhsa_user_sgpr_dispatch_id 0
		.amdhsa_user_sgpr_flat_scratch_init 0
		.amdhsa_user_sgpr_private_segment_size 0
		.amdhsa_uses_dynamic_stack 0
		.amdhsa_system_sgpr_private_segment_wavefront_offset 0
		.amdhsa_system_sgpr_workgroup_id_x 1
		.amdhsa_system_sgpr_workgroup_id_y 0
		.amdhsa_system_sgpr_workgroup_id_z 0
		.amdhsa_system_sgpr_workgroup_info 0
		.amdhsa_system_vgpr_workitem_id 0
		.amdhsa_next_free_vgpr 97
		.amdhsa_next_free_sgpr 32
		.amdhsa_reserve_vcc 1
		.amdhsa_reserve_flat_scratch 0
		.amdhsa_float_round_mode_32 0
		.amdhsa_float_round_mode_16_64 0
		.amdhsa_float_denorm_mode_32 3
		.amdhsa_float_denorm_mode_16_64 3
		.amdhsa_dx10_clamp 1
		.amdhsa_ieee_mode 1
		.amdhsa_fp16_overflow 0
		.amdhsa_exception_fp_ieee_invalid_op 0
		.amdhsa_exception_fp_denorm_src 0
		.amdhsa_exception_fp_ieee_div_zero 0
		.amdhsa_exception_fp_ieee_overflow 0
		.amdhsa_exception_fp_ieee_underflow 0
		.amdhsa_exception_fp_ieee_inexact 0
		.amdhsa_exception_int_div_zero 0
	.end_amdhsa_kernel
	.text
.Lfunc_end0:
	.size	fft_rtc_back_len1936_factors_2_2_4_11_11_wgs_176_tpt_176_sp_op_CI_CI_sbrr_dirReg, .Lfunc_end0-fft_rtc_back_len1936_factors_2_2_4_11_11_wgs_176_tpt_176_sp_op_CI_CI_sbrr_dirReg
                                        ; -- End function
	.section	.AMDGPU.csdata,"",@progbits
; Kernel info:
; codeLenInByte = 9196
; NumSgprs: 36
; NumVgprs: 97
; ScratchSize: 0
; MemoryBound: 0
; FloatMode: 240
; IeeeMode: 1
; LDSByteSize: 0 bytes/workgroup (compile time only)
; SGPRBlocks: 4
; VGPRBlocks: 24
; NumSGPRsForWavesPerEU: 36
; NumVGPRsForWavesPerEU: 97
; Occupancy: 2
; WaveLimiterHint : 1
; COMPUTE_PGM_RSRC2:SCRATCH_EN: 0
; COMPUTE_PGM_RSRC2:USER_SGPR: 6
; COMPUTE_PGM_RSRC2:TRAP_HANDLER: 0
; COMPUTE_PGM_RSRC2:TGID_X_EN: 1
; COMPUTE_PGM_RSRC2:TGID_Y_EN: 0
; COMPUTE_PGM_RSRC2:TGID_Z_EN: 0
; COMPUTE_PGM_RSRC2:TIDIG_COMP_CNT: 0
	.type	__hip_cuid_4146368fdaa8951b,@object ; @__hip_cuid_4146368fdaa8951b
	.section	.bss,"aw",@nobits
	.globl	__hip_cuid_4146368fdaa8951b
__hip_cuid_4146368fdaa8951b:
	.byte	0                               ; 0x0
	.size	__hip_cuid_4146368fdaa8951b, 1

	.ident	"AMD clang version 19.0.0git (https://github.com/RadeonOpenCompute/llvm-project roc-6.4.0 25133 c7fe45cf4b819c5991fe208aaa96edf142730f1d)"
	.section	".note.GNU-stack","",@progbits
	.addrsig
	.addrsig_sym __hip_cuid_4146368fdaa8951b
	.amdgpu_metadata
---
amdhsa.kernels:
  - .args:
      - .actual_access:  read_only
        .address_space:  global
        .offset:         0
        .size:           8
        .value_kind:     global_buffer
      - .offset:         8
        .size:           8
        .value_kind:     by_value
      - .actual_access:  read_only
        .address_space:  global
        .offset:         16
        .size:           8
        .value_kind:     global_buffer
      - .actual_access:  read_only
        .address_space:  global
        .offset:         24
        .size:           8
        .value_kind:     global_buffer
      - .actual_access:  read_only
        .address_space:  global
        .offset:         32
        .size:           8
        .value_kind:     global_buffer
      - .offset:         40
        .size:           8
        .value_kind:     by_value
      - .actual_access:  read_only
        .address_space:  global
        .offset:         48
        .size:           8
        .value_kind:     global_buffer
      - .actual_access:  read_only
        .address_space:  global
        .offset:         56
        .size:           8
        .value_kind:     global_buffer
      - .offset:         64
        .size:           4
        .value_kind:     by_value
      - .actual_access:  read_only
        .address_space:  global
        .offset:         72
        .size:           8
        .value_kind:     global_buffer
      - .actual_access:  read_only
        .address_space:  global
        .offset:         80
        .size:           8
        .value_kind:     global_buffer
      - .actual_access:  read_only
        .address_space:  global
        .offset:         88
        .size:           8
        .value_kind:     global_buffer
      - .actual_access:  write_only
        .address_space:  global
        .offset:         96
        .size:           8
        .value_kind:     global_buffer
    .group_segment_fixed_size: 0
    .kernarg_segment_align: 8
    .kernarg_segment_size: 104
    .language:       OpenCL C
    .language_version:
      - 2
      - 0
    .max_flat_workgroup_size: 176
    .name:           fft_rtc_back_len1936_factors_2_2_4_11_11_wgs_176_tpt_176_sp_op_CI_CI_sbrr_dirReg
    .private_segment_fixed_size: 0
    .sgpr_count:     36
    .sgpr_spill_count: 0
    .symbol:         fft_rtc_back_len1936_factors_2_2_4_11_11_wgs_176_tpt_176_sp_op_CI_CI_sbrr_dirReg.kd
    .uniform_work_group_size: 1
    .uses_dynamic_stack: false
    .vgpr_count:     97
    .vgpr_spill_count: 0
    .wavefront_size: 64
amdhsa.target:   amdgcn-amd-amdhsa--gfx906
amdhsa.version:
  - 1
  - 2
...

	.end_amdgpu_metadata
